;; amdgpu-corpus repo=linkedin/Liger-Kernel kind=triton arch=gfx950 opt=O3 lang=triton
	.amdgcn_target "amdgcn-amd-amdhsa--gfx950"
	.amdhsa_code_object_version 5
	.text
	.globl	_swiglu_backward_kernel         ; -- Begin function _swiglu_backward_kernel
	.p2align	8
	.type	_swiglu_backward_kernel,@function
_swiglu_backward_kernel:                ; @_swiglu_backward_kernel
.Lfunc_begin0:
	.cfi_sections .debug_frame
	.cfi_startproc
; %bb.1:
	.file	1 "/root/src/amdgpu-assembly/repos/linkedin__Liger-Kernel/triton_aot_kernels" "swiglu_aot.py"
	.loc	1 32 0 prologue_end             ; swiglu_aot.py:32:0
	s_load_dwordx2 s[2:3], s[0:1], 0x0
	s_load_dwordx8 s[4:11], s[0:1], 0x8
	s_load_dwordx2 s[12:13], s[0:1], 0x28
	s_waitcnt lgkmcnt(0)
	s_branch .LBB0_0
	.loc	1 0 0 is_stmt 0                 ; :0:0
.Ltmp0:
	.p2align	8
; %bb.2:
.LBB0_0:
.Ltmp1:
	.loc	1 42 31 is_stmt 1               ; swiglu_aot.py:42:31
	v_readfirstlane_b32 s0, v0
	s_mov_b32 s12, s9
	.loc	1 58 34                         ; swiglu_aot.py:58:34
	s_and_b32 s9, s0, 0xc0
	.loc	1 38 27                         ; swiglu_aot.py:38:27
	s_mul_hi_i32 s1, s8, s14
	s_mul_i32 s0, s8, s14
	.loc	1 38 14 is_stmt 0               ; swiglu_aot.py:38:14
	s_lshl_b64 s[10:11], s[0:1], 1
	s_add_u32 s0, s2, s10
	s_addc_u32 s1, s3, s11
	.loc	1 39 13 is_stmt 1               ; swiglu_aot.py:39:13
	s_add_u32 s8, s4, s10
	s_addc_u32 s5, s5, s11
	.loc	1 40 13                         ; swiglu_aot.py:40:13
	s_add_u32 s4, s6, s10
	.loc	1 42 31                         ; swiglu_aot.py:42:31
	v_and_or_b32 v0, v0, 63, s9
	s_mov_b32 s3, 0x27000
	s_mov_b32 s2, 0x7ffffffe
	.loc	1 40 13                         ; swiglu_aot.py:40:13
	s_addc_u32 s15, s7, s11
	.loc	1 45 21                         ; swiglu_aot.py:45:21
	v_lshlrev_b32_e32 v18, 1, v0
	.loc	1 47 20                         ; swiglu_aot.py:47:20
	s_and_b32 s9, s5, 0xffff
	s_mov_b32 s10, s2
	s_mov_b32 s11, s3
	buffer_load_ushort v0, v18, s[8:11], 0 offen offset:512
	buffer_load_ushort v2, v18, s[8:11], 0 offen
	.loc	1 48 20                         ; swiglu_aot.py:48:20
	s_mov_b32 s6, s2
	s_mov_b32 s7, s3
	s_and_b32 s5, s15, 0xffff
	.loc	1 45 21                         ; swiglu_aot.py:45:21
	v_or_b32_e32 v19, 0x1000, v18
	.loc	1 48 20                         ; swiglu_aot.py:48:20
	buffer_load_ushort v14, v18, s[4:7], 0 offen
	buffer_load_ushort v15, v18, s[4:7], 0 offen offset:512
	.loc	1 47 20                         ; swiglu_aot.py:47:20
	buffer_load_ushort v10, v18, s[8:11], 0 offen offset:1024
	buffer_load_ushort v11, v18, s[8:11], 0 offen offset:1536
	;; [unrolled: 1-line block ×6, first 2 shown]
	buffer_load_ushort v44, v19, s[8:11], 0 offen
	buffer_load_ushort v45, v19, s[8:11], 0 offen offset:512
	buffer_load_ushort v46, v19, s[8:11], 0 offen offset:1024
	;; [unrolled: 1-line block ×7, first 2 shown]
	.loc	1 45 21                         ; swiglu_aot.py:45:21
	s_and_b32 s1, s1, 0xffff
	buffer_load_ushort v4, v18, s[0:3], 0 offen
	buffer_load_ushort v5, v18, s[0:3], 0 offen offset:512
	buffer_load_ushort v12, v18, s[0:3], 0 offen offset:1024
	;; [unrolled: 1-line block ×7, first 2 shown]
	buffer_load_ushort v42, v19, s[0:3], 0 offen
	buffer_load_ushort v43, v19, s[0:3], 0 offen offset:512
	buffer_load_ushort v32, v19, s[0:3], 0 offen offset:1024
	buffer_load_ushort v34, v19, s[0:3], 0 offen offset:1536
	buffer_load_ushort v26, v19, s[0:3], 0 offen offset:2048
	buffer_load_ushort v28, v19, s[0:3], 0 offen offset:2560
	buffer_load_ushort v20, v19, s[0:3], 0 offen offset:3072
	buffer_load_ushort v21, v19, s[0:3], 0 offen offset:3584
	s_mov_b32 s13, 0x3fb8aa3b
	s_mov_b32 s14, 0xc2fc0000
.Ltmp2:
	.file	2 "/root/.local/lib/python3.13/site-packages/triton/language" "standard.py"
	.loc	2 50 29                         ; standard.py:50:29 @[ swiglu_aot.py:51:23 ]
	v_mov_b32_e32 v23, 0x42800000
	v_not_b32_e32 v22, 63
.Ltmp3:
	.loc	1 48 20                         ; swiglu_aot.py:48:20
	buffer_load_ushort v48, v18, s[4:7], 0 offen offset:1024
	buffer_load_ushort v49, v18, s[4:7], 0 offen offset:1536
	buffer_load_ushort v50, v18, s[4:7], 0 offen offset:2048
	buffer_load_ushort v51, v18, s[4:7], 0 offen offset:2560
	buffer_load_ushort v52, v18, s[4:7], 0 offen offset:3072
	buffer_load_ushort v53, v18, s[4:7], 0 offen offset:3584
	buffer_load_ushort v54, v19, s[4:7], 0 offen
	buffer_load_ushort v55, v19, s[4:7], 0 offen offset:512
	buffer_load_ushort v56, v19, s[4:7], 0 offen offset:1024
	;; [unrolled: 1-line block ×7, first 2 shown]
	.loc	1 53 22                         ; swiglu_aot.py:53:22
	s_waitcnt vmcnt(29)
	v_cvt_f32_f16_e32 v4, v4
	.loc	1 47 64                         ; swiglu_aot.py:47:64
	v_cvt_f32_f16_e32 v11, v11
	v_cvt_f32_f16_e32 v10, v10
	.loc	1 53 22                         ; swiglu_aot.py:53:22
	s_waitcnt vmcnt(28)
	v_cvt_f32_f16_e32 v5, v5
	s_waitcnt vmcnt(26)
	v_cvt_f32_f16_e32 v13, v13
	v_cvt_f32_f16_e32 v12, v12
	s_waitcnt vmcnt(24)
	v_cvt_f32_f16_e32 v17, v17
	.loc	1 47 64                         ; swiglu_aot.py:47:64
	v_cvt_f32_f16_e32 v1, v0
	v_cvt_f32_f16_e32 v0, v2
	.loc	1 53 22                         ; swiglu_aot.py:53:22
	v_cvt_f32_f16_e32 v16, v16
	s_waitcnt vmcnt(22)
	v_cvt_f32_f16_e32 v39, v39
	v_cvt_f32_f16_e32 v38, v38
	.loc	1 47 78                         ; swiglu_aot.py:47:78
	v_pk_mul_f32 v[0:1], s[12:13], v[0:1] op_sel_hi:[0,1]
.Ltmp4:
	.loc	2 50 29                         ; standard.py:50:29 @[ swiglu_aot.py:51:23 ]
	v_mul_f32_e64 v6, -v0, s13
	v_mul_f32_e64 v7, -v1, s13
	v_cmp_gt_f32_e32 vcc, s14, v6
	v_cmp_gt_f32_e64 s[0:1], s14, v7
	.loc	2 50 30 is_stmt 0               ; standard.py:50:30 @[ swiglu_aot.py:51:23 ]
	v_sub_f32_e32 v2, 0, v0
	v_sub_f32_e32 v3, 0, v1
	.loc	2 50 29                         ; standard.py:50:29 @[ swiglu_aot.py:51:23 ]
	v_cndmask_b32_e32 v6, 0, v23, vcc
	v_cndmask_b32_e64 v7, 0, v23, s[0:1]
	v_fmac_f32_e32 v6, 0x3fb8aa3b, v2
	v_fmac_f32_e32 v7, 0x3fb8aa3b, v3
	v_exp_f32_e32 v2, v6
	v_exp_f32_e32 v3, v7
	v_cndmask_b32_e32 v6, 0, v22, vcc
	v_cndmask_b32_e64 v7, 0, v22, s[0:1]
	v_ldexp_f32 v2, v2, v6
	v_ldexp_f32 v3, v3, v7
	.loc	2 50 20                         ; standard.py:50:20 @[ swiglu_aot.py:51:23 ]
	v_pk_add_f32 v[2:3], v[2:3], 1.0 op_sel_hi:[1,0]
.Ltmp5:
	.loc	1 53 22 is_stmt 1               ; swiglu_aot.py:53:22
	s_waitcnt vmcnt(20)
	v_cvt_f32_f16_e32 v43, v43
.Ltmp6:
	.loc	2 50 16                         ; standard.py:50:16 @[ swiglu_aot.py:51:23 ]
	v_div_scale_f32 v6, s[0:1], v3, v3, 1.0
	v_rcp_f32_e32 v7, v6
	v_div_scale_f32 v8, vcc, 1.0, v3, 1.0
.Ltmp7:
	.loc	1 53 22                         ; swiglu_aot.py:53:22
	v_cvt_f32_f16_e32 v42, v42
.Ltmp8:
	.loc	2 50 16                         ; standard.py:50:16 @[ swiglu_aot.py:51:23 ]
	v_fma_f32 v9, -v6, v7, 1.0
	v_fmac_f32_e32 v7, v9, v7
	v_mul_f32_e32 v9, v8, v7
	v_fma_f32 v58, -v6, v9, v8
	v_fmac_f32_e32 v9, v58, v7
	v_div_scale_f32 v58, s[0:1], v2, v2, 1.0
	v_rcp_f32_e32 v59, v58
	v_fma_f32 v6, -v6, v9, v8
	v_div_fmas_f32 v6, v6, v7, v9
	v_div_fixup_f32 v3, v6, v3, 1.0
	v_fma_f32 v7, -v58, v59, 1.0
	v_fmac_f32_e32 v59, v7, v59
	v_div_scale_f32 v7, vcc, 1.0, v2, 1.0
	v_mul_f32_e32 v8, v7, v59
	v_fma_f32 v9, -v58, v8, v7
	v_fmac_f32_e32 v8, v9, v59
	v_fma_f32 v6, -v58, v8, v7
	v_div_fmas_f32 v6, v6, v59, v8
	v_div_fixup_f32 v2, v6, v2, 1.0
.Ltmp9:
	.loc	1 52 21                         ; swiglu_aot.py:52:21
	v_pk_mul_f32 v[6:7], v[0:1], v[2:3]
	.loc	1 55 37                         ; swiglu_aot.py:55:37
	v_pk_add_f32 v[8:9], v[2:3], 1.0 op_sel_hi:[1,0] neg_lo:[1,0] neg_hi:[1,0]
	.loc	1 53 22                         ; swiglu_aot.py:53:22
	v_pk_mul_f32 v[0:1], v[6:7], v[4:5]
	.loc	1 55 46                         ; swiglu_aot.py:55:46
	v_pk_fma_f32 v[2:3], v[6:7], v[8:9], v[2:3]
	.loc	1 47 78                         ; swiglu_aot.py:47:78
	v_pk_mul_f32 v[8:9], s[12:13], v[10:11] op_sel_hi:[0,1]
	.loc	1 55 55                         ; swiglu_aot.py:55:55
	v_cvt_f32_f16_e32 v6, v14
.Ltmp10:
	.loc	2 50 29                         ; standard.py:50:29 @[ swiglu_aot.py:51:23 ]
	v_mul_f32_e64 v14, -v8, s13
	v_cmp_gt_f32_e32 vcc, s14, v14
	.loc	2 50 30 is_stmt 0               ; standard.py:50:30 @[ swiglu_aot.py:51:23 ]
	v_sub_f32_e32 v10, 0, v8
	v_sub_f32_e32 v11, 0, v9
	.loc	2 50 29                         ; standard.py:50:29 @[ swiglu_aot.py:51:23 ]
	v_cndmask_b32_e32 v14, 0, v23, vcc
	v_fmac_f32_e32 v14, 0x3fb8aa3b, v10
	v_exp_f32_e32 v10, v14
	v_mul_f32_e64 v14, -v9, s13
	v_cmp_gt_f32_e64 s[0:1], s14, v14
.Ltmp11:
	.loc	1 55 55 is_stmt 1               ; swiglu_aot.py:55:55
	v_cvt_f32_f16_e32 v7, v15
	.loc	1 55 23 is_stmt 0               ; swiglu_aot.py:55:23
	v_pk_mul_f32 v[2:3], v[2:3], v[4:5]
.Ltmp12:
	.loc	2 50 29 is_stmt 1               ; standard.py:50:29 @[ swiglu_aot.py:51:23 ]
	v_cndmask_b32_e64 v14, 0, v23, s[0:1]
	v_fmac_f32_e32 v14, 0x3fb8aa3b, v11
	v_exp_f32_e32 v11, v14
	v_cndmask_b32_e32 v14, 0, v22, vcc
	v_ldexp_f32 v10, v10, v14
	v_cndmask_b32_e64 v14, 0, v22, s[0:1]
	v_ldexp_f32 v11, v11, v14
	.loc	2 50 20 is_stmt 0               ; standard.py:50:20 @[ swiglu_aot.py:51:23 ]
	v_pk_add_f32 v[10:11], v[10:11], 1.0 op_sel_hi:[1,0]
.Ltmp13:
	.loc	1 55 55 is_stmt 1               ; swiglu_aot.py:55:55
	v_pk_mul_f32 v[2:3], v[2:3], v[6:7]
.Ltmp14:
	.loc	2 50 16                         ; standard.py:50:16 @[ swiglu_aot.py:51:23 ]
	v_div_scale_f32 v14, s[0:1], v11, v11, 1.0
	v_rcp_f32_e32 v15, v14
.Ltmp15:
	.loc	1 47 64                         ; swiglu_aot.py:47:64
	v_cvt_f32_f16_e32 v35, v35
	v_cvt_f32_f16_e32 v29, v29
	.loc	1 55 55                         ; swiglu_aot.py:55:55
	s_waitcnt vmcnt(2)
	v_cvt_f32_f16_e32 v31, v31
.Ltmp16:
	.loc	2 50 16                         ; standard.py:50:16 @[ swiglu_aot.py:51:23 ]
	v_fma_f32 v4, -v14, v15, 1.0
	v_fmac_f32_e32 v15, v4, v15
	v_div_scale_f32 v4, vcc, 1.0, v11, 1.0
	v_mul_f32_e32 v5, v4, v15
	v_fma_f32 v6, -v14, v5, v4
	v_fmac_f32_e32 v5, v6, v15
	v_div_scale_f32 v6, s[0:1], v10, v10, 1.0
	v_fma_f32 v4, -v14, v5, v4
	v_rcp_f32_e32 v14, v6
	v_div_fmas_f32 v4, v4, v15, v5
	v_div_fixup_f32 v7, v4, v11, 1.0
.Ltmp17:
	.loc	1 47 64                         ; swiglu_aot.py:47:64
	v_cvt_f32_f16_e32 v15, v37
.Ltmp18:
	.loc	2 50 16                         ; standard.py:50:16 @[ swiglu_aot.py:51:23 ]
	v_fma_f32 v4, -v6, v14, 1.0
	v_fmac_f32_e32 v14, v4, v14
	v_div_scale_f32 v4, vcc, 1.0, v10, 1.0
	v_mul_f32_e32 v5, v4, v14
	v_fma_f32 v11, -v6, v5, v4
	v_fmac_f32_e32 v5, v11, v14
	v_fma_f32 v4, -v6, v5, v4
	v_div_fmas_f32 v4, v4, v14, v5
.Ltmp19:
	.loc	1 47 64                         ; swiglu_aot.py:47:64
	v_cvt_f32_f16_e32 v14, v36
.Ltmp20:
	.loc	2 50 16                         ; standard.py:50:16 @[ swiglu_aot.py:51:23 ]
	v_div_fixup_f32 v6, v4, v10, 1.0
.Ltmp21:
	.loc	1 52 21                         ; swiglu_aot.py:52:21
	v_pk_mul_f32 v[8:9], v[8:9], v[6:7]
	.loc	1 55 37                         ; swiglu_aot.py:55:37
	v_pk_add_f32 v[10:11], v[6:7], 1.0 op_sel_hi:[1,0] neg_lo:[1,0] neg_hi:[1,0]
	.loc	1 53 22                         ; swiglu_aot.py:53:22
	v_pk_mul_f32 v[4:5], v[8:9], v[12:13]
	.loc	1 55 46                         ; swiglu_aot.py:55:46
	v_pk_fma_f32 v[6:7], v[8:9], v[10:11], v[6:7]
	.loc	1 47 78                         ; swiglu_aot.py:47:78
	v_pk_mul_f32 v[10:11], s[12:13], v[14:15] op_sel_hi:[0,1]
.Ltmp22:
	.loc	2 50 29                         ; standard.py:50:29 @[ swiglu_aot.py:51:23 ]
	v_mul_f32_e64 v36, -v10, s13
	v_cmp_gt_f32_e32 vcc, s14, v36
	.loc	2 50 30 is_stmt 0               ; standard.py:50:30 @[ swiglu_aot.py:51:23 ]
	v_sub_f32_e32 v14, 0, v10
	v_sub_f32_e32 v15, 0, v11
	.loc	2 50 29                         ; standard.py:50:29 @[ swiglu_aot.py:51:23 ]
	v_cndmask_b32_e32 v36, 0, v23, vcc
	v_fmac_f32_e32 v36, 0x3fb8aa3b, v14
	v_exp_f32_e32 v14, v36
	v_mul_f32_e64 v36, -v11, s13
	v_cmp_gt_f32_e64 s[0:1], s14, v36
.Ltmp23:
	.loc	1 55 55 is_stmt 1               ; swiglu_aot.py:55:55
	v_cvt_f32_f16_e32 v9, v49
	v_cvt_f32_f16_e32 v8, v48
.Ltmp24:
	.loc	2 50 29                         ; standard.py:50:29 @[ swiglu_aot.py:51:23 ]
	v_cndmask_b32_e64 v36, 0, v23, s[0:1]
	v_fmac_f32_e32 v36, 0x3fb8aa3b, v15
	v_exp_f32_e32 v15, v36
	v_cndmask_b32_e32 v36, 0, v22, vcc
	v_ldexp_f32 v14, v14, v36
	v_cndmask_b32_e64 v36, 0, v22, s[0:1]
	v_ldexp_f32 v15, v15, v36
	.loc	2 50 20 is_stmt 0               ; standard.py:50:20 @[ swiglu_aot.py:51:23 ]
	v_pk_add_f32 v[14:15], v[14:15], 1.0 op_sel_hi:[1,0]
.Ltmp25:
	.loc	1 55 23 is_stmt 1               ; swiglu_aot.py:55:23
	v_pk_mul_f32 v[6:7], v[6:7], v[12:13]
.Ltmp26:
	.loc	2 50 16                         ; standard.py:50:16 @[ swiglu_aot.py:51:23 ]
	v_div_scale_f32 v36, s[0:1], v15, v15, 1.0
	v_rcp_f32_e32 v37, v36
.Ltmp27:
	.loc	1 55 55                         ; swiglu_aot.py:55:55
	v_pk_mul_f32 v[6:7], v[6:7], v[8:9]
	v_cvt_f32_f16_e32 v30, v30
	.loc	1 55 63 is_stmt 0               ; swiglu_aot.py:55:63
	v_pk_mul_f32 v[2:3], s[12:13], v[2:3] op_sel_hi:[0,1]
.Ltmp28:
	.loc	2 50 16 is_stmt 1               ; standard.py:50:16 @[ swiglu_aot.py:51:23 ]
	v_fma_f32 v8, -v36, v37, 1.0
	v_fmac_f32_e32 v37, v8, v37
	v_div_scale_f32 v8, vcc, 1.0, v15, 1.0
	v_mul_f32_e32 v9, v8, v37
	v_fma_f32 v12, -v36, v9, v8
	v_fmac_f32_e32 v9, v12, v37
	v_div_scale_f32 v12, s[0:1], v14, v14, 1.0
	v_fma_f32 v8, -v36, v9, v8
	v_rcp_f32_e32 v36, v12
	v_div_fmas_f32 v8, v8, v37, v9
	v_div_fixup_f32 v13, v8, v15, 1.0
.Ltmp29:
	.loc	1 47 64                         ; swiglu_aot.py:47:64
	v_cvt_f32_f16_e32 v37, v41
.Ltmp30:
	.loc	2 50 16                         ; standard.py:50:16 @[ swiglu_aot.py:51:23 ]
	v_fma_f32 v8, -v12, v36, 1.0
	v_fmac_f32_e32 v36, v8, v36
	v_div_scale_f32 v8, vcc, 1.0, v14, 1.0
	v_mul_f32_e32 v9, v8, v36
	v_fma_f32 v15, -v12, v9, v8
	v_fmac_f32_e32 v9, v15, v36
	v_fma_f32 v8, -v12, v9, v8
	v_div_fmas_f32 v8, v8, v36, v9
.Ltmp31:
	.loc	1 47 64                         ; swiglu_aot.py:47:64
	v_cvt_f32_f16_e32 v36, v40
.Ltmp32:
	.loc	2 50 16                         ; standard.py:50:16 @[ swiglu_aot.py:51:23 ]
	v_div_fixup_f32 v12, v8, v14, 1.0
.Ltmp33:
	.loc	1 52 21                         ; swiglu_aot.py:52:21
	v_pk_mul_f32 v[10:11], v[10:11], v[12:13]
	.loc	1 55 37                         ; swiglu_aot.py:55:37
	v_pk_add_f32 v[14:15], v[12:13], 1.0 op_sel_hi:[1,0] neg_lo:[1,0] neg_hi:[1,0]
	.loc	1 53 22                         ; swiglu_aot.py:53:22
	v_pk_mul_f32 v[8:9], v[10:11], v[16:17]
	.loc	1 55 46                         ; swiglu_aot.py:55:46
	v_pk_fma_f32 v[10:11], v[10:11], v[14:15], v[12:13]
	.loc	1 47 78                         ; swiglu_aot.py:47:78
	v_pk_mul_f32 v[14:15], s[12:13], v[36:37] op_sel_hi:[0,1]
.Ltmp34:
	.loc	2 50 29                         ; standard.py:50:29 @[ swiglu_aot.py:51:23 ]
	v_mul_f32_e64 v40, -v14, s13
	v_cmp_gt_f32_e32 vcc, s14, v40
	.loc	2 50 30 is_stmt 0               ; standard.py:50:30 @[ swiglu_aot.py:51:23 ]
	v_sub_f32_e32 v36, 0, v14
	v_sub_f32_e32 v37, 0, v15
	.loc	2 50 29                         ; standard.py:50:29 @[ swiglu_aot.py:51:23 ]
	v_cndmask_b32_e32 v40, 0, v23, vcc
	v_fmac_f32_e32 v40, 0x3fb8aa3b, v36
	v_exp_f32_e32 v36, v40
	v_mul_f32_e64 v40, -v15, s13
	v_cmp_gt_f32_e64 s[0:1], s14, v40
.Ltmp35:
	.loc	1 55 55 is_stmt 1               ; swiglu_aot.py:55:55
	v_cvt_f32_f16_e32 v13, v51
	v_cvt_f32_f16_e32 v12, v50
.Ltmp36:
	.loc	2 50 29                         ; standard.py:50:29 @[ swiglu_aot.py:51:23 ]
	v_cndmask_b32_e64 v40, 0, v23, s[0:1]
	v_fmac_f32_e32 v40, 0x3fb8aa3b, v37
	v_exp_f32_e32 v37, v40
	v_cndmask_b32_e32 v40, 0, v22, vcc
	v_ldexp_f32 v36, v36, v40
	v_cndmask_b32_e64 v40, 0, v22, s[0:1]
	v_ldexp_f32 v37, v37, v40
	.loc	2 50 20 is_stmt 0               ; standard.py:50:20 @[ swiglu_aot.py:51:23 ]
	v_pk_add_f32 v[36:37], v[36:37], 1.0 op_sel_hi:[1,0]
.Ltmp37:
	.loc	1 55 23 is_stmt 1               ; swiglu_aot.py:55:23
	v_pk_mul_f32 v[10:11], v[10:11], v[16:17]
.Ltmp38:
	.loc	2 50 16                         ; standard.py:50:16 @[ swiglu_aot.py:51:23 ]
	v_div_scale_f32 v40, s[0:1], v37, v37, 1.0
	v_rcp_f32_e32 v41, v40
.Ltmp39:
	.loc	1 55 55                         ; swiglu_aot.py:55:55
	v_pk_mul_f32 v[10:11], v[10:11], v[12:13]
	.loc	1 55 63 is_stmt 0               ; swiglu_aot.py:55:63
	v_pk_mul_f32 v[6:7], s[12:13], v[6:7] op_sel_hi:[0,1]
	.loc	1 53 22 is_stmt 1               ; swiglu_aot.py:53:22
	v_cvt_f32_f16_e32 v21, v21
.Ltmp40:
	.loc	2 50 16                         ; standard.py:50:16 @[ swiglu_aot.py:51:23 ]
	v_fma_f32 v12, -v40, v41, 1.0
	v_fmac_f32_e32 v41, v12, v41
	v_div_scale_f32 v12, vcc, 1.0, v37, 1.0
	v_mul_f32_e32 v13, v12, v41
	v_fma_f32 v16, -v40, v13, v12
	v_fmac_f32_e32 v13, v16, v41
	v_div_scale_f32 v16, s[0:1], v36, v36, 1.0
	v_fma_f32 v12, -v40, v13, v12
	v_rcp_f32_e32 v40, v16
	v_div_fmas_f32 v12, v12, v41, v13
	v_div_fixup_f32 v17, v12, v37, 1.0
.Ltmp41:
	.loc	1 47 64                         ; swiglu_aot.py:47:64
	v_cvt_f32_f16_e32 v41, v45
.Ltmp42:
	.loc	2 50 16                         ; standard.py:50:16 @[ swiglu_aot.py:51:23 ]
	v_fma_f32 v12, -v16, v40, 1.0
	v_fmac_f32_e32 v40, v12, v40
	v_div_scale_f32 v12, vcc, 1.0, v36, 1.0
	v_mul_f32_e32 v13, v12, v40
	v_fma_f32 v37, -v16, v13, v12
	v_fmac_f32_e32 v13, v37, v40
	v_fma_f32 v12, -v16, v13, v12
	v_div_fmas_f32 v12, v12, v40, v13
.Ltmp43:
	.loc	1 47 64                         ; swiglu_aot.py:47:64
	v_cvt_f32_f16_e32 v40, v44
.Ltmp44:
	.loc	2 50 16                         ; standard.py:50:16 @[ swiglu_aot.py:51:23 ]
	v_div_fixup_f32 v16, v12, v36, 1.0
.Ltmp45:
	.loc	1 52 21                         ; swiglu_aot.py:52:21
	v_pk_mul_f32 v[14:15], v[14:15], v[16:17]
	.loc	1 55 37                         ; swiglu_aot.py:55:37
	v_pk_add_f32 v[36:37], v[16:17], 1.0 op_sel_hi:[1,0] neg_lo:[1,0] neg_hi:[1,0]
	.loc	1 53 22                         ; swiglu_aot.py:53:22
	v_pk_mul_f32 v[12:13], v[14:15], v[38:39]
	.loc	1 55 46                         ; swiglu_aot.py:55:46
	v_pk_fma_f32 v[14:15], v[14:15], v[36:37], v[16:17]
	.loc	1 47 78                         ; swiglu_aot.py:47:78
	v_pk_mul_f32 v[36:37], s[12:13], v[40:41] op_sel_hi:[0,1]
.Ltmp46:
	.loc	2 50 29                         ; standard.py:50:29 @[ swiglu_aot.py:51:23 ]
	v_mul_f32_e64 v44, -v36, s13
	v_cmp_gt_f32_e32 vcc, s14, v44
	.loc	2 50 30 is_stmt 0               ; standard.py:50:30 @[ swiglu_aot.py:51:23 ]
	v_sub_f32_e32 v40, 0, v36
	v_sub_f32_e32 v41, 0, v37
	.loc	2 50 29                         ; standard.py:50:29 @[ swiglu_aot.py:51:23 ]
	v_cndmask_b32_e32 v44, 0, v23, vcc
	v_fmac_f32_e32 v44, 0x3fb8aa3b, v40
	v_exp_f32_e32 v40, v44
	v_mul_f32_e64 v44, -v37, s13
	v_cmp_gt_f32_e64 s[0:1], s14, v44
.Ltmp47:
	.loc	1 55 55 is_stmt 1               ; swiglu_aot.py:55:55
	v_cvt_f32_f16_e32 v17, v53
	v_cvt_f32_f16_e32 v16, v52
.Ltmp48:
	.loc	2 50 29                         ; standard.py:50:29 @[ swiglu_aot.py:51:23 ]
	v_cndmask_b32_e64 v44, 0, v23, s[0:1]
	v_fmac_f32_e32 v44, 0x3fb8aa3b, v41
	v_exp_f32_e32 v41, v44
	v_cndmask_b32_e32 v44, 0, v22, vcc
	v_ldexp_f32 v40, v40, v44
	v_cndmask_b32_e64 v44, 0, v22, s[0:1]
	v_ldexp_f32 v41, v41, v44
	.loc	2 50 20 is_stmt 0               ; standard.py:50:20 @[ swiglu_aot.py:51:23 ]
	v_pk_add_f32 v[40:41], v[40:41], 1.0 op_sel_hi:[1,0]
.Ltmp49:
	.loc	1 55 23 is_stmt 1               ; swiglu_aot.py:55:23
	v_pk_mul_f32 v[14:15], v[14:15], v[38:39]
.Ltmp50:
	.loc	2 50 16                         ; standard.py:50:16 @[ swiglu_aot.py:51:23 ]
	v_div_scale_f32 v44, s[0:1], v41, v41, 1.0
	v_rcp_f32_e32 v45, v44
.Ltmp51:
	.loc	1 55 55                         ; swiglu_aot.py:55:55
	v_pk_mul_f32 v[14:15], v[14:15], v[16:17]
	.loc	1 53 22                         ; swiglu_aot.py:53:22
	v_cvt_f32_f16_e32 v20, v20
	.loc	1 57 34                         ; swiglu_aot.py:57:34
	v_cvt_pk_f16_f32 v2, v2, v3
.Ltmp52:
	.loc	2 50 16                         ; standard.py:50:16 @[ swiglu_aot.py:51:23 ]
	v_fma_f32 v16, -v44, v45, 1.0
	v_fmac_f32_e32 v45, v16, v45
	v_div_scale_f32 v16, vcc, 1.0, v41, 1.0
	v_mul_f32_e32 v17, v16, v45
	v_fma_f32 v38, -v44, v17, v16
	v_fmac_f32_e32 v17, v38, v45
	v_div_scale_f32 v38, s[0:1], v40, v40, 1.0
	v_fma_f32 v16, -v44, v17, v16
	v_rcp_f32_e32 v44, v38
	v_div_fmas_f32 v16, v16, v45, v17
	v_div_fixup_f32 v39, v16, v41, 1.0
.Ltmp53:
	.loc	1 47 64                         ; swiglu_aot.py:47:64
	v_cvt_f32_f16_e32 v45, v47
.Ltmp54:
	.loc	2 50 16                         ; standard.py:50:16 @[ swiglu_aot.py:51:23 ]
	v_fma_f32 v16, -v38, v44, 1.0
	v_fmac_f32_e32 v44, v16, v44
	v_div_scale_f32 v16, vcc, 1.0, v40, 1.0
	v_mul_f32_e32 v17, v16, v44
	v_fma_f32 v41, -v38, v17, v16
	v_fmac_f32_e32 v17, v41, v44
	v_fma_f32 v16, -v38, v17, v16
	v_div_fmas_f32 v16, v16, v44, v17
.Ltmp55:
	.loc	1 47 64                         ; swiglu_aot.py:47:64
	v_cvt_f32_f16_e32 v44, v46
.Ltmp56:
	.loc	2 50 16                         ; standard.py:50:16 @[ swiglu_aot.py:51:23 ]
	v_div_fixup_f32 v38, v16, v40, 1.0
.Ltmp57:
	.loc	1 52 21                         ; swiglu_aot.py:52:21
	v_pk_mul_f32 v[36:37], v[36:37], v[38:39]
	.loc	1 55 37                         ; swiglu_aot.py:55:37
	v_pk_add_f32 v[40:41], v[38:39], 1.0 op_sel_hi:[1,0] neg_lo:[1,0] neg_hi:[1,0]
	.loc	1 53 22                         ; swiglu_aot.py:53:22
	v_pk_mul_f32 v[16:17], v[36:37], v[42:43]
	.loc	1 55 46                         ; swiglu_aot.py:55:46
	v_pk_fma_f32 v[36:37], v[36:37], v[40:41], v[38:39]
	.loc	1 47 78                         ; swiglu_aot.py:47:78
	v_pk_mul_f32 v[40:41], s[12:13], v[44:45] op_sel_hi:[0,1]
.Ltmp58:
	.loc	2 50 29                         ; standard.py:50:29 @[ swiglu_aot.py:51:23 ]
	v_mul_f32_e64 v46, -v40, s13
	v_cmp_gt_f32_e32 vcc, s14, v46
	.loc	2 50 30 is_stmt 0               ; standard.py:50:30 @[ swiglu_aot.py:51:23 ]
	v_sub_f32_e32 v44, 0, v40
	v_sub_f32_e32 v45, 0, v41
	.loc	2 50 29                         ; standard.py:50:29 @[ swiglu_aot.py:51:23 ]
	v_cndmask_b32_e32 v46, 0, v23, vcc
	v_fmac_f32_e32 v46, 0x3fb8aa3b, v44
	v_exp_f32_e32 v44, v46
	v_mul_f32_e64 v46, -v41, s13
	v_cmp_gt_f32_e64 s[0:1], s14, v46
.Ltmp59:
	.loc	1 55 55 is_stmt 1               ; swiglu_aot.py:55:55
	v_cvt_f32_f16_e32 v39, v55
	v_cvt_f32_f16_e32 v38, v54
.Ltmp60:
	.loc	2 50 29                         ; standard.py:50:29 @[ swiglu_aot.py:51:23 ]
	v_cndmask_b32_e64 v46, 0, v23, s[0:1]
	v_fmac_f32_e32 v46, 0x3fb8aa3b, v45
	v_exp_f32_e32 v45, v46
	v_cndmask_b32_e32 v46, 0, v22, vcc
	v_ldexp_f32 v44, v44, v46
	v_cndmask_b32_e64 v46, 0, v22, s[0:1]
	v_ldexp_f32 v45, v45, v46
	.loc	2 50 20 is_stmt 0               ; standard.py:50:20 @[ swiglu_aot.py:51:23 ]
	v_pk_add_f32 v[44:45], v[44:45], 1.0 op_sel_hi:[1,0]
.Ltmp61:
	.loc	1 55 23 is_stmt 1               ; swiglu_aot.py:55:23
	v_pk_mul_f32 v[36:37], v[36:37], v[42:43]
.Ltmp62:
	.loc	2 50 16                         ; standard.py:50:16 @[ swiglu_aot.py:51:23 ]
	v_div_scale_f32 v46, s[0:1], v45, v45, 1.0
	v_rcp_f32_e32 v47, v46
.Ltmp63:
	.loc	1 55 55                         ; swiglu_aot.py:55:55
	v_pk_mul_f32 v[36:37], v[36:37], v[38:39]
	.loc	1 55 63 is_stmt 0               ; swiglu_aot.py:55:63
	v_pk_mul_f32 v[10:11], s[12:13], v[10:11] op_sel_hi:[0,1]
	.loc	1 55 55                         ; swiglu_aot.py:55:55
	s_waitcnt vmcnt(0)
	v_cvt_f32_f16_e32 v25, v25
.Ltmp64:
	.loc	2 50 16 is_stmt 1               ; standard.py:50:16 @[ swiglu_aot.py:51:23 ]
	v_fma_f32 v38, -v46, v47, 1.0
	v_fmac_f32_e32 v47, v38, v47
	v_div_scale_f32 v38, vcc, 1.0, v45, 1.0
	v_mul_f32_e32 v39, v38, v47
	v_fma_f32 v42, -v46, v39, v38
	v_fmac_f32_e32 v39, v42, v47
	v_div_scale_f32 v42, s[0:1], v44, v44, 1.0
	v_fma_f32 v38, -v46, v39, v38
	v_rcp_f32_e32 v46, v42
	v_div_fmas_f32 v38, v38, v47, v39
	v_div_fixup_f32 v39, v38, v45, 1.0
.Ltmp65:
	.loc	1 55 55                         ; swiglu_aot.py:55:55
	v_cvt_f32_f16_e32 v24, v24
.Ltmp66:
	.loc	2 50 16                         ; standard.py:50:16 @[ swiglu_aot.py:51:23 ]
	v_fma_f32 v38, -v42, v46, 1.0
	v_fmac_f32_e32 v46, v38, v46
	v_div_scale_f32 v38, vcc, 1.0, v44, 1.0
	v_mul_f32_e32 v45, v38, v46
	v_fma_f32 v43, -v42, v45, v38
	v_fmac_f32_e32 v45, v43, v46
.Ltmp67:
	.loc	1 53 22                         ; swiglu_aot.py:53:22
	v_cvt_f32_f16_e32 v43, v34
	.loc	1 47 64                         ; swiglu_aot.py:47:64
	v_cvt_f32_f16_e32 v34, v33
.Ltmp68:
	.loc	2 50 16                         ; standard.py:50:16 @[ swiglu_aot.py:51:23 ]
	v_fma_f32 v38, -v42, v45, v38
.Ltmp69:
	.loc	1 53 22                         ; swiglu_aot.py:53:22
	v_cvt_f32_f16_e32 v42, v32
.Ltmp70:
	.loc	2 50 16                         ; standard.py:50:16 @[ swiglu_aot.py:51:23 ]
	v_div_fmas_f32 v32, v38, v46, v45
	v_div_fixup_f32 v38, v32, v44, 1.0
.Ltmp71:
	.loc	1 52 21                         ; swiglu_aot.py:52:21
	v_pk_mul_f32 v[40:41], v[40:41], v[38:39]
	.loc	1 55 37                         ; swiglu_aot.py:55:37
	v_pk_add_f32 v[46:47], v[38:39], 1.0 op_sel_hi:[1,0] neg_lo:[1,0] neg_hi:[1,0]
	.loc	1 47 78                         ; swiglu_aot.py:47:78
	v_pk_mul_f32 v[34:35], s[12:13], v[34:35] op_sel_hi:[0,1]
	.loc	1 55 46                         ; swiglu_aot.py:55:46
	v_pk_fma_f32 v[32:33], v[40:41], v[46:47], v[38:39]
.Ltmp72:
	.loc	2 50 29                         ; standard.py:50:29 @[ swiglu_aot.py:51:23 ]
	v_mul_f32_e64 v46, -v34, s13
	v_cmp_gt_f32_e32 vcc, s14, v46
.Ltmp73:
	.loc	1 53 22                         ; swiglu_aot.py:53:22
	v_pk_mul_f32 v[44:45], v[40:41], v[42:43]
.Ltmp74:
	.loc	2 50 30                         ; standard.py:50:30 @[ swiglu_aot.py:51:23 ]
	v_sub_f32_e32 v40, 0, v34
	.loc	2 50 29 is_stmt 0               ; standard.py:50:29 @[ swiglu_aot.py:51:23 ]
	v_cndmask_b32_e32 v46, 0, v23, vcc
	v_fmac_f32_e32 v46, 0x3fb8aa3b, v40
	v_exp_f32_e32 v40, v46
	v_mul_f32_e64 v46, -v35, s13
	v_cmp_gt_f32_e64 s[0:1], s14, v46
	.loc	2 50 30                         ; standard.py:50:30 @[ swiglu_aot.py:51:23 ]
	v_sub_f32_e32 v41, 0, v35
.Ltmp75:
	.loc	1 55 55 is_stmt 1               ; swiglu_aot.py:55:55
	v_cvt_f32_f16_e32 v39, v57
.Ltmp76:
	.loc	2 50 29                         ; standard.py:50:29 @[ swiglu_aot.py:51:23 ]
	v_cndmask_b32_e64 v46, 0, v23, s[0:1]
	v_fmac_f32_e32 v46, 0x3fb8aa3b, v41
	v_exp_f32_e32 v41, v46
	v_cndmask_b32_e32 v46, 0, v22, vcc
	v_ldexp_f32 v40, v40, v46
	v_cndmask_b32_e64 v46, 0, v22, s[0:1]
	v_ldexp_f32 v41, v41, v46
	.loc	2 50 20 is_stmt 0               ; standard.py:50:20 @[ swiglu_aot.py:51:23 ]
	v_pk_add_f32 v[40:41], v[40:41], 1.0 op_sel_hi:[1,0]
.Ltmp77:
	.loc	1 55 55 is_stmt 1               ; swiglu_aot.py:55:55
	v_cvt_f32_f16_e32 v38, v56
.Ltmp78:
	.loc	2 50 16                         ; standard.py:50:16 @[ swiglu_aot.py:51:23 ]
	v_div_scale_f32 v46, s[0:1], v41, v41, 1.0
	v_rcp_f32_e32 v47, v46
.Ltmp79:
	.loc	1 55 23                         ; swiglu_aot.py:55:23
	v_pk_mul_f32 v[32:33], v[32:33], v[42:43]
	.loc	1 57 34                         ; swiglu_aot.py:57:34
	v_cvt_pk_f16_f32 v3, v6, v7
	.loc	1 55 55                         ; swiglu_aot.py:55:55
	v_pk_mul_f32 v[32:33], v[32:33], v[38:39]
.Ltmp80:
	.loc	2 50 16                         ; standard.py:50:16 @[ swiglu_aot.py:51:23 ]
	v_fma_f32 v38, -v46, v47, 1.0
	v_fmac_f32_e32 v47, v38, v47
	v_div_scale_f32 v38, vcc, 1.0, v41, 1.0
	v_mul_f32_e32 v39, v38, v47
	v_fma_f32 v42, -v46, v39, v38
	v_fmac_f32_e32 v39, v42, v47
	v_div_scale_f32 v42, s[0:1], v40, v40, 1.0
	v_fma_f32 v38, -v46, v39, v38
	v_rcp_f32_e32 v46, v42
	v_div_fmas_f32 v38, v38, v47, v39
	v_div_fixup_f32 v39, v38, v41, 1.0
.Ltmp81:
	.loc	1 57 34                         ; swiglu_aot.py:57:34
	buffer_store_short v2, v18, s[8:11], 0 offen
.Ltmp82:
	.loc	2 50 16                         ; standard.py:50:16 @[ swiglu_aot.py:51:23 ]
	v_fma_f32 v38, -v42, v46, 1.0
	v_fmac_f32_e32 v46, v38, v46
	v_div_scale_f32 v38, vcc, 1.0, v40, 1.0
	v_mul_f32_e32 v41, v38, v46
	v_fma_f32 v43, -v42, v41, v38
	v_fmac_f32_e32 v41, v43, v46
.Ltmp83:
	.loc	1 53 22                         ; swiglu_aot.py:53:22
	v_cvt_f32_f16_e32 v43, v28
	.loc	1 47 64                         ; swiglu_aot.py:47:64
	v_cvt_f32_f16_e32 v28, v27
.Ltmp84:
	.loc	2 50 16                         ; standard.py:50:16 @[ swiglu_aot.py:51:23 ]
	v_fma_f32 v38, -v42, v41, v38
.Ltmp85:
	.loc	1 53 22                         ; swiglu_aot.py:53:22
	v_cvt_f32_f16_e32 v42, v26
.Ltmp86:
	.loc	2 50 16                         ; standard.py:50:16 @[ swiglu_aot.py:51:23 ]
	v_div_fmas_f32 v26, v38, v46, v41
	v_div_fixup_f32 v38, v26, v40, 1.0
.Ltmp87:
	.loc	1 52 21                         ; swiglu_aot.py:52:21
	v_pk_mul_f32 v[34:35], v[34:35], v[38:39]
	.loc	1 55 37                         ; swiglu_aot.py:55:37
	v_pk_add_f32 v[46:47], v[38:39], 1.0 op_sel_hi:[1,0] neg_lo:[1,0] neg_hi:[1,0]
	.loc	1 47 78                         ; swiglu_aot.py:47:78
	v_pk_mul_f32 v[28:29], s[12:13], v[28:29] op_sel_hi:[0,1]
	.loc	1 55 46                         ; swiglu_aot.py:55:46
	v_pk_fma_f32 v[26:27], v[34:35], v[46:47], v[38:39]
.Ltmp88:
	.loc	2 50 29                         ; standard.py:50:29 @[ swiglu_aot.py:51:23 ]
	v_mul_f32_e64 v38, -v28, s13
	v_cmp_gt_f32_e32 vcc, s14, v38
.Ltmp89:
	.loc	1 53 22                         ; swiglu_aot.py:53:22
	v_pk_mul_f32 v[40:41], v[34:35], v[42:43]
.Ltmp90:
	.loc	2 50 30                         ; standard.py:50:30 @[ swiglu_aot.py:51:23 ]
	v_sub_f32_e32 v34, 0, v28
	.loc	2 50 29 is_stmt 0               ; standard.py:50:29 @[ swiglu_aot.py:51:23 ]
	v_cndmask_b32_e32 v38, 0, v23, vcc
	v_fmac_f32_e32 v38, 0x3fb8aa3b, v34
	v_exp_f32_e32 v34, v38
	v_mul_f32_e64 v38, -v29, s13
	v_cmp_gt_f32_e64 s[0:1], s14, v38
	.loc	2 50 30                         ; standard.py:50:30 @[ swiglu_aot.py:51:23 ]
	v_sub_f32_e32 v35, 0, v29
.Ltmp91:
	.loc	1 55 23 is_stmt 1               ; swiglu_aot.py:55:23
	v_pk_mul_f32 v[26:27], v[26:27], v[42:43]
.Ltmp92:
	.loc	2 50 29                         ; standard.py:50:29 @[ swiglu_aot.py:51:23 ]
	v_cndmask_b32_e64 v23, 0, v23, s[0:1]
	v_fmac_f32_e32 v23, 0x3fb8aa3b, v35
	v_exp_f32_e32 v23, v23
	v_cndmask_b32_e32 v35, 0, v22, vcc
	v_cndmask_b32_e64 v22, 0, v22, s[0:1]
	v_ldexp_f32 v34, v34, v35
	v_ldexp_f32 v35, v23, v22
	.loc	2 50 20 is_stmt 0               ; standard.py:50:20 @[ swiglu_aot.py:51:23 ]
	v_pk_add_f32 v[22:23], v[34:35], 1.0 op_sel_hi:[1,0]
.Ltmp93:
	.loc	1 55 55 is_stmt 1               ; swiglu_aot.py:55:55
	v_pk_mul_f32 v[26:27], v[26:27], v[30:31]
.Ltmp94:
	.loc	2 50 16                         ; standard.py:50:16 @[ swiglu_aot.py:51:23 ]
	v_div_scale_f32 v34, s[0:1], v23, v23, 1.0
	v_rcp_f32_e32 v35, v34
.Ltmp95:
	.loc	1 57 34                         ; swiglu_aot.py:57:34
	v_lshrrev_b32_e32 v2, 16, v2
	.loc	1 55 63                         ; swiglu_aot.py:55:63
	v_pk_mul_f32 v[14:15], s[12:13], v[14:15] op_sel_hi:[0,1]
	.loc	1 57 34                         ; swiglu_aot.py:57:34
	v_cvt_pk_f16_f32 v6, v10, v11
.Ltmp96:
	.loc	2 50 16                         ; standard.py:50:16 @[ swiglu_aot.py:51:23 ]
	v_fma_f32 v30, -v34, v35, 1.0
	v_fmac_f32_e32 v35, v30, v35
	v_div_scale_f32 v30, vcc, 1.0, v23, 1.0
	v_mul_f32_e32 v31, v30, v35
	v_fma_f32 v38, -v34, v31, v30
	v_fmac_f32_e32 v31, v38, v35
	v_fma_f32 v30, -v34, v31, v30
	v_div_scale_f32 v34, s[0:1], v22, v22, 1.0
	v_rcp_f32_e32 v38, v34
	v_div_fmas_f32 v30, v30, v35, v31
	v_div_fixup_f32 v23, v30, v23, 1.0
.Ltmp97:
	.loc	1 57 34                         ; swiglu_aot.py:57:34
	buffer_store_short v2, v18, s[8:11], 0 offen offset:512
	buffer_store_short v3, v18, s[8:11], 0 offen offset:1024
.Ltmp98:
	.loc	2 50 16                         ; standard.py:50:16 @[ swiglu_aot.py:51:23 ]
	v_fma_f32 v30, -v34, v38, 1.0
	v_fmac_f32_e32 v38, v30, v38
	v_div_scale_f32 v30, vcc, 1.0, v22, 1.0
	v_mul_f32_e32 v31, v30, v38
	v_fma_f32 v35, -v34, v31, v30
	v_fmac_f32_e32 v31, v35, v38
	v_fma_f32 v30, -v34, v31, v30
	v_div_fmas_f32 v30, v30, v38, v31
	v_div_fixup_f32 v22, v30, v22, 1.0
.Ltmp99:
	.loc	1 52 21                         ; swiglu_aot.py:52:21
	v_pk_mul_f32 v[28:29], v[28:29], v[22:23]
	.loc	1 55 37                         ; swiglu_aot.py:55:37
	v_pk_add_f32 v[34:35], v[22:23], 1.0 op_sel_hi:[1,0] neg_lo:[1,0] neg_hi:[1,0]
	.loc	1 57 34                         ; swiglu_aot.py:57:34
	v_lshrrev_b32_e32 v2, 16, v3
	.loc	1 55 63                         ; swiglu_aot.py:55:63
	v_pk_mul_f32 v[36:37], s[12:13], v[36:37] op_sel_hi:[0,1]
	.loc	1 55 46 is_stmt 0               ; swiglu_aot.py:55:46
	v_pk_fma_f32 v[22:23], v[28:29], v[34:35], v[22:23]
	.loc	1 57 34 is_stmt 1               ; swiglu_aot.py:57:34
	v_cvt_pk_f16_f32 v7, v14, v15
	buffer_store_short v2, v18, s[8:11], 0 offen offset:1536
	buffer_store_short v6, v18, s[8:11], 0 offen offset:2048
	v_lshrrev_b32_e32 v2, 16, v6
	.loc	1 55 63                         ; swiglu_aot.py:55:63
	v_pk_mul_f32 v[32:33], s[12:13], v[32:33] op_sel_hi:[0,1]
	.loc	1 53 22                         ; swiglu_aot.py:53:22
	v_pk_mul_f32 v[30:31], v[28:29], v[20:21]
	.loc	1 55 23                         ; swiglu_aot.py:55:23
	v_pk_mul_f32 v[20:21], v[22:23], v[20:21]
	.loc	1 57 34                         ; swiglu_aot.py:57:34
	v_cvt_pk_f16_f32 v10, v36, v37
	buffer_store_short v2, v18, s[8:11], 0 offen offset:2560
	buffer_store_short v7, v18, s[8:11], 0 offen offset:3072
	v_lshrrev_b32_e32 v2, 16, v7
	.loc	1 55 63                         ; swiglu_aot.py:55:63
	v_pk_mul_f32 v[26:27], s[12:13], v[26:27] op_sel_hi:[0,1]
	.loc	1 55 55 is_stmt 0               ; swiglu_aot.py:55:55
	v_pk_mul_f32 v[20:21], v[20:21], v[24:25]
	.loc	1 57 34 is_stmt 1               ; swiglu_aot.py:57:34
	v_cvt_pk_f16_f32 v11, v32, v33
	buffer_store_short v2, v18, s[8:11], 0 offen offset:3584
	buffer_store_short v10, v19, s[8:11], 0 offen
	v_lshrrev_b32_e32 v2, 16, v10
	.loc	1 55 63                         ; swiglu_aot.py:55:63
	v_pk_mul_f32 v[20:21], s[12:13], v[20:21] op_sel_hi:[0,1]
	.loc	1 57 34                         ; swiglu_aot.py:57:34
	v_cvt_pk_f16_f32 v14, v26, v27
	buffer_store_short v2, v19, s[8:11], 0 offen offset:512
	buffer_store_short v11, v19, s[8:11], 0 offen offset:1024
	v_lshrrev_b32_e32 v2, 16, v11
	v_cvt_pk_f16_f32 v15, v20, v21
	buffer_store_short v2, v19, s[8:11], 0 offen offset:1536
	buffer_store_short v14, v19, s[8:11], 0 offen offset:2048
	v_lshrrev_b32_e32 v2, 16, v14
	buffer_store_short v2, v19, s[8:11], 0 offen offset:2560
	buffer_store_short v15, v19, s[8:11], 0 offen offset:3072
	v_lshrrev_b32_e32 v2, 16, v15
	.loc	1 58 34                         ; swiglu_aot.py:58:34
	v_cvt_pk_f16_f32 v0, v0, v1
	.loc	1 57 34                         ; swiglu_aot.py:57:34
	buffer_store_short v2, v19, s[8:11], 0 offen offset:3584
	.loc	1 58 34                         ; swiglu_aot.py:58:34
	v_cvt_pk_f16_f32 v1, v4, v5
	buffer_store_short v0, v18, s[4:7], 0 offen
	v_lshrrev_b32_e32 v0, 16, v0
	v_cvt_pk_f16_f32 v2, v8, v9
	buffer_store_short v0, v18, s[4:7], 0 offen offset:512
	buffer_store_short v1, v18, s[4:7], 0 offen offset:1024
	v_lshrrev_b32_e32 v0, 16, v1
	v_cvt_pk_f16_f32 v3, v12, v13
	buffer_store_short v0, v18, s[4:7], 0 offen offset:1536
	buffer_store_short v2, v18, s[4:7], 0 offen offset:2048
	;; [unrolled: 4-line block ×3, first 2 shown]
	v_lshrrev_b32_e32 v0, 16, v3
	v_cvt_pk_f16_f32 v5, v44, v45
	buffer_store_short v0, v18, s[4:7], 0 offen offset:3584
	buffer_store_short v4, v19, s[4:7], 0 offen
	v_lshrrev_b32_e32 v0, 16, v4
	v_cvt_pk_f16_f32 v6, v40, v41
	buffer_store_short v0, v19, s[4:7], 0 offen offset:512
	buffer_store_short v5, v19, s[4:7], 0 offen offset:1024
	v_lshrrev_b32_e32 v0, 16, v5
	v_cvt_pk_f16_f32 v7, v30, v31
	buffer_store_short v0, v19, s[4:7], 0 offen offset:1536
	buffer_store_short v6, v19, s[4:7], 0 offen offset:2048
	v_lshrrev_b32_e32 v0, 16, v6
	buffer_store_short v0, v19, s[4:7], 0 offen offset:2560
	buffer_store_short v7, v19, s[4:7], 0 offen offset:3072
	v_lshrrev_b32_e32 v0, 16, v7
	buffer_store_short v0, v19, s[4:7], 0 offen offset:3584
	.loc	1 58 4 is_stmt 0                ; swiglu_aot.py:58:4
	s_endpgm
.Ltmp100:
	.section	.rodata,"a",@progbits
	.p2align	6, 0x0
	.amdhsa_kernel _swiglu_backward_kernel
		.amdhsa_group_segment_fixed_size 0
		.amdhsa_private_segment_fixed_size 0
		.amdhsa_kernarg_size 48
		.amdhsa_user_sgpr_count 14
		.amdhsa_user_sgpr_dispatch_ptr 0
		.amdhsa_user_sgpr_queue_ptr 0
		.amdhsa_user_sgpr_kernarg_segment_ptr 1
		.amdhsa_user_sgpr_dispatch_id 0
		.amdhsa_user_sgpr_kernarg_preload_length 12
		.amdhsa_user_sgpr_kernarg_preload_offset 0
		.amdhsa_user_sgpr_private_segment_size 0
		.amdhsa_uses_dynamic_stack 0
		.amdhsa_enable_private_segment 0
		.amdhsa_system_sgpr_workgroup_id_x 1
		.amdhsa_system_sgpr_workgroup_id_y 0
		.amdhsa_system_sgpr_workgroup_id_z 0
		.amdhsa_system_sgpr_workgroup_info 0
		.amdhsa_system_vgpr_workitem_id 0
		.amdhsa_next_free_vgpr 60
		.amdhsa_next_free_sgpr 16
		.amdhsa_accum_offset 60
		.amdhsa_reserve_vcc 1
		.amdhsa_reserve_xnack_mask 1
		.amdhsa_float_round_mode_32 0
		.amdhsa_float_round_mode_16_64 0
		.amdhsa_float_denorm_mode_32 3
		.amdhsa_float_denorm_mode_16_64 3
		.amdhsa_dx10_clamp 1
		.amdhsa_ieee_mode 1
		.amdhsa_fp16_overflow 0
		.amdhsa_tg_split 0
		.amdhsa_exception_fp_ieee_invalid_op 0
		.amdhsa_exception_fp_denorm_src 0
		.amdhsa_exception_fp_ieee_div_zero 0
		.amdhsa_exception_fp_ieee_overflow 0
		.amdhsa_exception_fp_ieee_underflow 0
		.amdhsa_exception_fp_ieee_inexact 0
		.amdhsa_exception_int_div_zero 0
	.end_amdhsa_kernel
	.text
.Lfunc_end0:
	.size	_swiglu_backward_kernel, .Lfunc_end0-_swiglu_backward_kernel
	.cfi_endproc
                                        ; -- End function
	.set _swiglu_backward_kernel.num_vgpr, 60
	.set _swiglu_backward_kernel.num_agpr, 0
	.set _swiglu_backward_kernel.numbered_sgpr, 16
	.set _swiglu_backward_kernel.num_named_barrier, 0
	.set _swiglu_backward_kernel.private_seg_size, 0
	.set _swiglu_backward_kernel.uses_vcc, 1
	.set _swiglu_backward_kernel.uses_flat_scratch, 0
	.set _swiglu_backward_kernel.has_dyn_sized_stack, 0
	.set _swiglu_backward_kernel.has_recursion, 0
	.set _swiglu_backward_kernel.has_indirect_call, 0
	.section	.AMDGPU.csdata,"",@progbits
; Kernel info:
; codeLenInByte = 4000
; TotalNumSgprs: 22
; NumVgprs: 60
; NumAgprs: 0
; TotalNumVgprs: 60
; ScratchSize: 0
; MemoryBound: 0
; FloatMode: 240
; IeeeMode: 1
; LDSByteSize: 0 bytes/workgroup (compile time only)
; SGPRBlocks: 2
; VGPRBlocks: 7
; NumSGPRsForWavesPerEU: 22
; NumVGPRsForWavesPerEU: 60
; AccumOffset: 60
; Occupancy: 8
; WaveLimiterHint : 0
; COMPUTE_PGM_RSRC2:SCRATCH_EN: 0
; COMPUTE_PGM_RSRC2:USER_SGPR: 14
; COMPUTE_PGM_RSRC2:TRAP_HANDLER: 0
; COMPUTE_PGM_RSRC2:TGID_X_EN: 1
; COMPUTE_PGM_RSRC2:TGID_Y_EN: 0
; COMPUTE_PGM_RSRC2:TGID_Z_EN: 0
; COMPUTE_PGM_RSRC2:TIDIG_COMP_CNT: 0
; COMPUTE_PGM_RSRC3_GFX90A:ACCUM_OFFSET: 14
; COMPUTE_PGM_RSRC3_GFX90A:TG_SPLIT: 0
	.text
	.p2alignl 6, 3212836864
	.fill 256, 4, 3212836864
	.section	.AMDGPU.gpr_maximums,"",@progbits
	.set amdgpu.max_num_vgpr, 0
	.set amdgpu.max_num_agpr, 0
	.set amdgpu.max_num_sgpr, 0
	.set amdgpu.max_num_named_barrier, 0
	.text
	.section	.debug_abbrev,"",@progbits
	.byte	1                               ; Abbreviation Code
	.byte	17                              ; DW_TAG_compile_unit
	.byte	1                               ; DW_CHILDREN_yes
	.byte	37                              ; DW_AT_producer
	.byte	14                              ; DW_FORM_strp
	.byte	19                              ; DW_AT_language
	.byte	5                               ; DW_FORM_data2
	.byte	3                               ; DW_AT_name
	.byte	14                              ; DW_FORM_strp
	.byte	16                              ; DW_AT_stmt_list
	.byte	23                              ; DW_FORM_sec_offset
	.byte	27                              ; DW_AT_comp_dir
	.byte	14                              ; DW_FORM_strp
	.byte	17                              ; DW_AT_low_pc
	.byte	1                               ; DW_FORM_addr
	.byte	18                              ; DW_AT_high_pc
	.byte	6                               ; DW_FORM_data4
	.byte	0                               ; EOM(1)
	.byte	0                               ; EOM(2)
	.byte	2                               ; Abbreviation Code
	.byte	46                              ; DW_TAG_subprogram
	.byte	0                               ; DW_CHILDREN_no
	.byte	3                               ; DW_AT_name
	.byte	14                              ; DW_FORM_strp
	.byte	32                              ; DW_AT_inline
	.byte	11                              ; DW_FORM_data1
	.byte	0                               ; EOM(1)
	.byte	0                               ; EOM(2)
	.byte	3                               ; Abbreviation Code
	.byte	46                              ; DW_TAG_subprogram
	.byte	1                               ; DW_CHILDREN_yes
	.byte	17                              ; DW_AT_low_pc
	.byte	1                               ; DW_FORM_addr
	.byte	18                              ; DW_AT_high_pc
	.byte	6                               ; DW_FORM_data4
	.byte	49                              ; DW_AT_abstract_origin
	.byte	19                              ; DW_FORM_ref4
	.byte	0                               ; EOM(1)
	.byte	0                               ; EOM(2)
	.byte	4                               ; Abbreviation Code
	.byte	29                              ; DW_TAG_inlined_subroutine
	.byte	0                               ; DW_CHILDREN_no
	.byte	49                              ; DW_AT_abstract_origin
	.byte	19                              ; DW_FORM_ref4
	.byte	85                              ; DW_AT_ranges
	.byte	23                              ; DW_FORM_sec_offset
	.byte	88                              ; DW_AT_call_file
	.byte	11                              ; DW_FORM_data1
	.byte	89                              ; DW_AT_call_line
	.byte	11                              ; DW_FORM_data1
	.byte	87                              ; DW_AT_call_column
	.byte	11                              ; DW_FORM_data1
	.byte	0                               ; EOM(1)
	.byte	0                               ; EOM(2)
	.byte	0                               ; EOM(3)
	.section	.debug_info,"",@progbits
.Lcu_begin0:
	.long	.Ldebug_info_end0-.Ldebug_info_start0 ; Length of Unit
.Ldebug_info_start0:
	.short	4                               ; DWARF version number
	.long	.debug_abbrev                   ; Offset Into Abbrev. Section
	.byte	8                               ; Address Size (in bytes)
	.byte	1                               ; Abbrev [1] 0xb:0x44 DW_TAG_compile_unit
	.long	.Linfo_string0                  ; DW_AT_producer
	.short	2                               ; DW_AT_language
	.long	.Linfo_string1                  ; DW_AT_name
	.long	.Lline_table_start0             ; DW_AT_stmt_list
	.long	.Linfo_string2                  ; DW_AT_comp_dir
	.quad	.Lfunc_begin0                   ; DW_AT_low_pc
	.long	.Lfunc_end0-.Lfunc_begin0       ; DW_AT_high_pc
	.byte	2                               ; Abbrev [2] 0x2a:0x6 DW_TAG_subprogram
	.long	.Linfo_string3                  ; DW_AT_name
	.byte	1                               ; DW_AT_inline
	.byte	3                               ; Abbrev [3] 0x30:0x1e DW_TAG_subprogram
	.quad	.Lfunc_begin0                   ; DW_AT_low_pc
	.long	.Lfunc_end0-.Lfunc_begin0       ; DW_AT_high_pc
	.long	42                              ; DW_AT_abstract_origin
	.byte	4                               ; Abbrev [4] 0x41:0xc DW_TAG_inlined_subroutine
	.long	42                              ; DW_AT_abstract_origin
	.long	.Ldebug_ranges0                 ; DW_AT_ranges
	.byte	1                               ; DW_AT_call_file
	.byte	51                              ; DW_AT_call_line
	.byte	23                              ; DW_AT_call_column
	.byte	0                               ; End Of Children Mark
	.byte	0                               ; End Of Children Mark
.Ldebug_info_end0:
	.section	.debug_ranges,"",@progbits
.Ldebug_ranges0:
	.quad	.Ltmp2-.Lfunc_begin0
	.quad	.Ltmp3-.Lfunc_begin0
	;; [unrolled: 1-line block ×98, first 2 shown]
	.quad	0
	.quad	0
	.section	.debug_str,"MS",@progbits,1
.Linfo_string0:
	.asciz	"triton"                        ; string offset=0
.Linfo_string1:
	.asciz	"swiglu_aot.py"                 ; string offset=7
.Linfo_string2:
	.asciz	"/root/src/amdgpu-assembly/repos/linkedin__Liger-Kernel/triton_aot_kernels" ; string offset=21
.Linfo_string3:
	.asciz	"_swiglu_backward_kernel"       ; string offset=95
	.section	".note.GNU-stack","",@progbits
	.amdgpu_metadata
---
amdhsa.kernels:
  - .agpr_count:     0
    .args:
      - .address_space:  global
        .offset:         0
        .size:           8
        .value_kind:     global_buffer
      - .address_space:  global
        .offset:         8
        .size:           8
        .value_kind:     global_buffer
      - .address_space:  global
        .offset:         16
        .size:           8
        .value_kind:     global_buffer
      - .offset:         24
        .size:           4
        .value_kind:     by_value
      - .offset:         28
        .size:           4
        .value_kind:     by_value
      - .address_space:  global
        .offset:         32
        .size:           8
        .value_kind:     global_buffer
      - .address_space:  global
        .offset:         40
        .size:           8
        .value_kind:     global_buffer
    .group_segment_fixed_size: 0
    .kernarg_segment_align: 8
    .kernarg_segment_size: 48
    .max_flat_workgroup_size: 256
    .name:           _swiglu_backward_kernel
    .private_segment_fixed_size: 0
    .sgpr_count:     22
    .sgpr_spill_count: 0
    .symbol:         _swiglu_backward_kernel.kd
    .uniform_work_group_size: 1
    .uses_dynamic_stack: false
    .vgpr_count:     60
    .vgpr_spill_count: 0
    .wavefront_size: 64
amdhsa.target:   amdgcn-amd-amdhsa--gfx950
amdhsa.version:
  - 1
  - 2
...

	.end_amdgpu_metadata
	.section	.debug_line,"",@progbits
.Lline_table_start0:
